;; amdgpu-corpus repo=ROCm/rocFFT kind=compiled arch=gfx906 opt=O3
	.text
	.amdgcn_target "amdgcn-amd-amdhsa--gfx906"
	.amdhsa_code_object_version 6
	.protected	fft_rtc_fwd_len616_factors_11_7_8_wgs_88_tpt_88_sp_op_CI_CI_unitstride_sbrr_dirReg ; -- Begin function fft_rtc_fwd_len616_factors_11_7_8_wgs_88_tpt_88_sp_op_CI_CI_unitstride_sbrr_dirReg
	.globl	fft_rtc_fwd_len616_factors_11_7_8_wgs_88_tpt_88_sp_op_CI_CI_unitstride_sbrr_dirReg
	.p2align	8
	.type	fft_rtc_fwd_len616_factors_11_7_8_wgs_88_tpt_88_sp_op_CI_CI_unitstride_sbrr_dirReg,@function
fft_rtc_fwd_len616_factors_11_7_8_wgs_88_tpt_88_sp_op_CI_CI_unitstride_sbrr_dirReg: ; @fft_rtc_fwd_len616_factors_11_7_8_wgs_88_tpt_88_sp_op_CI_CI_unitstride_sbrr_dirReg
; %bb.0:
	s_load_dwordx4 s[8:11], s[4:5], 0x58
	s_load_dwordx4 s[12:15], s[4:5], 0x0
	;; [unrolled: 1-line block ×3, first 2 shown]
	v_mul_u32_u24_e32 v1, 0x2e9, v0
	v_mov_b32_e32 v4, 0
	v_mov_b32_e32 v2, 0
	s_waitcnt lgkmcnt(0)
	v_cmp_lt_u64_e64 s[0:1], s[14:15], 2
	v_add_u32_sdwa v6, s6, v1 dst_sel:DWORD dst_unused:UNUSED_PAD src0_sel:DWORD src1_sel:WORD_1
	v_mov_b32_e32 v7, v4
	s_and_b64 vcc, exec, s[0:1]
	v_mov_b32_e32 v3, 0
	s_cbranch_vccnz .LBB0_8
; %bb.1:
	s_load_dwordx2 s[0:1], s[4:5], 0x10
	s_add_u32 s2, s18, 8
	s_addc_u32 s3, s19, 0
	s_add_u32 s6, s16, 8
	v_mov_b32_e32 v2, 0
	s_addc_u32 s7, s17, 0
	v_mov_b32_e32 v3, 0
	s_waitcnt lgkmcnt(0)
	s_add_u32 s20, s0, 8
	v_mov_b32_e32 v17, v3
	s_addc_u32 s21, s1, 0
	s_mov_b64 s[22:23], 1
	v_mov_b32_e32 v16, v2
.LBB0_2:                                ; =>This Inner Loop Header: Depth=1
	s_load_dwordx2 s[24:25], s[20:21], 0x0
                                        ; implicit-def: $vgpr20_vgpr21
	s_waitcnt lgkmcnt(0)
	v_or_b32_e32 v5, s25, v7
	v_cmp_ne_u64_e32 vcc, 0, v[4:5]
	s_and_saveexec_b64 s[0:1], vcc
	s_xor_b64 s[26:27], exec, s[0:1]
	s_cbranch_execz .LBB0_4
; %bb.3:                                ;   in Loop: Header=BB0_2 Depth=1
	v_cvt_f32_u32_e32 v1, s24
	v_cvt_f32_u32_e32 v5, s25
	s_sub_u32 s0, 0, s24
	s_subb_u32 s1, 0, s25
	v_mac_f32_e32 v1, 0x4f800000, v5
	v_rcp_f32_e32 v1, v1
	v_mul_f32_e32 v1, 0x5f7ffffc, v1
	v_mul_f32_e32 v5, 0x2f800000, v1
	v_trunc_f32_e32 v5, v5
	v_mac_f32_e32 v1, 0xcf800000, v5
	v_cvt_u32_f32_e32 v5, v5
	v_cvt_u32_f32_e32 v1, v1
	v_mul_lo_u32 v8, s0, v5
	v_mul_hi_u32 v9, s0, v1
	v_mul_lo_u32 v11, s1, v1
	v_mul_lo_u32 v10, s0, v1
	v_add_u32_e32 v8, v9, v8
	v_add_u32_e32 v8, v8, v11
	v_mul_hi_u32 v9, v1, v10
	v_mul_lo_u32 v11, v1, v8
	v_mul_hi_u32 v13, v1, v8
	v_mul_hi_u32 v12, v5, v10
	v_mul_lo_u32 v10, v5, v10
	v_mul_hi_u32 v14, v5, v8
	v_add_co_u32_e32 v9, vcc, v9, v11
	v_addc_co_u32_e32 v11, vcc, 0, v13, vcc
	v_mul_lo_u32 v8, v5, v8
	v_add_co_u32_e32 v9, vcc, v9, v10
	v_addc_co_u32_e32 v9, vcc, v11, v12, vcc
	v_addc_co_u32_e32 v10, vcc, 0, v14, vcc
	v_add_co_u32_e32 v8, vcc, v9, v8
	v_addc_co_u32_e32 v9, vcc, 0, v10, vcc
	v_add_co_u32_e32 v1, vcc, v1, v8
	v_addc_co_u32_e32 v5, vcc, v5, v9, vcc
	v_mul_lo_u32 v8, s0, v5
	v_mul_hi_u32 v9, s0, v1
	v_mul_lo_u32 v10, s1, v1
	v_mul_lo_u32 v11, s0, v1
	v_add_u32_e32 v8, v9, v8
	v_add_u32_e32 v8, v8, v10
	v_mul_lo_u32 v12, v1, v8
	v_mul_hi_u32 v13, v1, v11
	v_mul_hi_u32 v14, v1, v8
	v_mul_hi_u32 v10, v5, v11
	v_mul_lo_u32 v11, v5, v11
	v_mul_hi_u32 v9, v5, v8
	v_add_co_u32_e32 v12, vcc, v13, v12
	v_addc_co_u32_e32 v13, vcc, 0, v14, vcc
	v_mul_lo_u32 v8, v5, v8
	v_add_co_u32_e32 v11, vcc, v12, v11
	v_addc_co_u32_e32 v10, vcc, v13, v10, vcc
	v_addc_co_u32_e32 v9, vcc, 0, v9, vcc
	v_add_co_u32_e32 v8, vcc, v10, v8
	v_addc_co_u32_e32 v9, vcc, 0, v9, vcc
	v_add_co_u32_e32 v1, vcc, v1, v8
	v_addc_co_u32_e32 v5, vcc, v5, v9, vcc
	v_mad_u64_u32 v[8:9], s[0:1], v6, v5, 0
	v_mul_hi_u32 v10, v6, v1
	v_add_co_u32_e32 v12, vcc, v10, v8
	v_addc_co_u32_e32 v13, vcc, 0, v9, vcc
	v_mad_u64_u32 v[8:9], s[0:1], v7, v1, 0
	v_mad_u64_u32 v[10:11], s[0:1], v7, v5, 0
	v_add_co_u32_e32 v1, vcc, v12, v8
	v_addc_co_u32_e32 v1, vcc, v13, v9, vcc
	v_addc_co_u32_e32 v5, vcc, 0, v11, vcc
	v_add_co_u32_e32 v1, vcc, v1, v10
	v_addc_co_u32_e32 v5, vcc, 0, v5, vcc
	v_mul_lo_u32 v10, s25, v1
	v_mul_lo_u32 v11, s24, v5
	v_mad_u64_u32 v[8:9], s[0:1], s24, v1, 0
	v_add3_u32 v9, v9, v11, v10
	v_sub_u32_e32 v10, v7, v9
	v_mov_b32_e32 v11, s25
	v_sub_co_u32_e32 v8, vcc, v6, v8
	v_subb_co_u32_e64 v10, s[0:1], v10, v11, vcc
	v_subrev_co_u32_e64 v11, s[0:1], s24, v8
	v_subbrev_co_u32_e64 v10, s[0:1], 0, v10, s[0:1]
	v_cmp_le_u32_e64 s[0:1], s25, v10
	v_cndmask_b32_e64 v12, 0, -1, s[0:1]
	v_cmp_le_u32_e64 s[0:1], s24, v11
	v_cndmask_b32_e64 v11, 0, -1, s[0:1]
	v_cmp_eq_u32_e64 s[0:1], s25, v10
	v_cndmask_b32_e64 v10, v12, v11, s[0:1]
	v_add_co_u32_e64 v11, s[0:1], 2, v1
	v_addc_co_u32_e64 v12, s[0:1], 0, v5, s[0:1]
	v_add_co_u32_e64 v13, s[0:1], 1, v1
	v_addc_co_u32_e64 v14, s[0:1], 0, v5, s[0:1]
	v_subb_co_u32_e32 v9, vcc, v7, v9, vcc
	v_cmp_ne_u32_e64 s[0:1], 0, v10
	v_cmp_le_u32_e32 vcc, s25, v9
	v_cndmask_b32_e64 v10, v14, v12, s[0:1]
	v_cndmask_b32_e64 v12, 0, -1, vcc
	v_cmp_le_u32_e32 vcc, s24, v8
	v_cndmask_b32_e64 v8, 0, -1, vcc
	v_cmp_eq_u32_e32 vcc, s25, v9
	v_cndmask_b32_e32 v8, v12, v8, vcc
	v_cmp_ne_u32_e32 vcc, 0, v8
	v_cndmask_b32_e32 v21, v5, v10, vcc
	v_cndmask_b32_e64 v5, v13, v11, s[0:1]
	v_cndmask_b32_e32 v20, v1, v5, vcc
.LBB0_4:                                ;   in Loop: Header=BB0_2 Depth=1
	s_andn2_saveexec_b64 s[0:1], s[26:27]
	s_cbranch_execz .LBB0_6
; %bb.5:                                ;   in Loop: Header=BB0_2 Depth=1
	v_cvt_f32_u32_e32 v1, s24
	s_sub_i32 s26, 0, s24
	v_mov_b32_e32 v21, v4
	v_rcp_iflag_f32_e32 v1, v1
	v_mul_f32_e32 v1, 0x4f7ffffe, v1
	v_cvt_u32_f32_e32 v1, v1
	v_mul_lo_u32 v5, s26, v1
	v_mul_hi_u32 v5, v1, v5
	v_add_u32_e32 v1, v1, v5
	v_mul_hi_u32 v1, v6, v1
	v_mul_lo_u32 v5, v1, s24
	v_add_u32_e32 v8, 1, v1
	v_sub_u32_e32 v5, v6, v5
	v_subrev_u32_e32 v9, s24, v5
	v_cmp_le_u32_e32 vcc, s24, v5
	v_cndmask_b32_e32 v5, v5, v9, vcc
	v_cndmask_b32_e32 v1, v1, v8, vcc
	v_add_u32_e32 v8, 1, v1
	v_cmp_le_u32_e32 vcc, s24, v5
	v_cndmask_b32_e32 v20, v1, v8, vcc
.LBB0_6:                                ;   in Loop: Header=BB0_2 Depth=1
	s_or_b64 exec, exec, s[0:1]
	v_mul_lo_u32 v1, v21, s24
	v_mul_lo_u32 v5, v20, s25
	v_mad_u64_u32 v[8:9], s[0:1], v20, s24, 0
	s_load_dwordx2 s[0:1], s[6:7], 0x0
	s_load_dwordx2 s[24:25], s[2:3], 0x0
	v_add3_u32 v1, v9, v5, v1
	v_sub_co_u32_e32 v5, vcc, v6, v8
	v_subb_co_u32_e32 v1, vcc, v7, v1, vcc
	s_waitcnt lgkmcnt(0)
	v_mul_lo_u32 v6, s0, v1
	v_mul_lo_u32 v7, s1, v5
	v_mad_u64_u32 v[2:3], s[0:1], s0, v5, v[2:3]
	s_add_u32 s22, s22, 1
	s_addc_u32 s23, s23, 0
	s_add_u32 s2, s2, 8
	v_mul_lo_u32 v1, s24, v1
	v_mul_lo_u32 v8, s25, v5
	v_mad_u64_u32 v[16:17], s[0:1], s24, v5, v[16:17]
	v_add3_u32 v3, v7, v3, v6
	s_addc_u32 s3, s3, 0
	v_mov_b32_e32 v5, s14
	s_add_u32 s6, s6, 8
	v_mov_b32_e32 v6, s15
	s_addc_u32 s7, s7, 0
	v_cmp_ge_u64_e32 vcc, s[22:23], v[5:6]
	s_add_u32 s20, s20, 8
	v_add3_u32 v17, v8, v17, v1
	s_addc_u32 s21, s21, 0
	s_cbranch_vccnz .LBB0_9
; %bb.7:                                ;   in Loop: Header=BB0_2 Depth=1
	v_mov_b32_e32 v6, v20
	v_mov_b32_e32 v7, v21
	s_branch .LBB0_2
.LBB0_8:
	v_mov_b32_e32 v17, v3
	v_mov_b32_e32 v21, v7
	;; [unrolled: 1-line block ×4, first 2 shown]
.LBB0_9:
	s_mov_b32 s2, 0x2e8ba2f
	s_load_dwordx2 s[0:1], s[4:5], 0x28
	v_mul_hi_u32 v1, v0, s2
	s_lshl_b64 s[14:15], s[14:15], 3
	s_add_u32 s4, s18, s14
	s_addc_u32 s5, s19, s15
	v_mul_u32_u24_e32 v1, 0x58, v1
	s_waitcnt lgkmcnt(0)
	v_cmp_gt_u64_e64 s[0:1], s[0:1], v[20:21]
	v_sub_u32_e32 v18, v0, v1
	v_cmp_gt_u32_e64 s[2:3], 56, v18
	s_and_b64 s[18:19], s[0:1], s[2:3]
	v_mov_b32_e32 v1, 0
	v_mov_b32_e32 v0, 0
                                        ; implicit-def: $vgpr7
                                        ; implicit-def: $vgpr9
                                        ; implicit-def: $vgpr11
                                        ; implicit-def: $vgpr15
                                        ; implicit-def: $vgpr25
                                        ; implicit-def: $vgpr23
                                        ; implicit-def: $vgpr5
                                        ; implicit-def: $vgpr13
                                        ; implicit-def: $vgpr29
                                        ; implicit-def: $vgpr27
	s_and_saveexec_b64 s[6:7], s[18:19]
	s_cbranch_execz .LBB0_11
; %bb.10:
	s_add_u32 s14, s16, s14
	s_addc_u32 s15, s17, s15
	s_load_dwordx2 s[14:15], s[14:15], 0x0
	v_mov_b32_e32 v6, s9
	v_mov_b32_e32 v19, 0
	s_waitcnt lgkmcnt(0)
	v_mul_lo_u32 v4, s15, v20
	v_mul_lo_u32 v5, s14, v21
	v_mad_u64_u32 v[0:1], s[14:15], s14, v20, 0
	v_add3_u32 v1, v1, v5, v4
	v_lshlrev_b64 v[0:1], 3, v[0:1]
	v_add_co_u32_e32 v4, vcc, s8, v0
	v_addc_co_u32_e32 v5, vcc, v6, v1, vcc
	v_lshlrev_b64 v[0:1], 3, v[2:3]
	v_add_co_u32_e32 v2, vcc, v4, v0
	v_addc_co_u32_e32 v3, vcc, v5, v1, vcc
	;; [unrolled: 3-line block ×3, first 2 shown]
	global_load_dwordx2 v[0:1], v[2:3], off
	global_load_dwordx2 v[6:7], v[2:3], off offset:448
	global_load_dwordx2 v[8:9], v[2:3], off offset:896
	;; [unrolled: 1-line block ×7, first 2 shown]
	v_add_co_u32_e32 v30, vcc, 0x1000, v2
	v_addc_co_u32_e32 v31, vcc, 0, v3, vcc
	global_load_dwordx2 v[28:29], v[2:3], off offset:3584
	global_load_dwordx2 v[12:13], v[2:3], off offset:4032
	;; [unrolled: 1-line block ×3, first 2 shown]
.LBB0_11:
	s_or_b64 exec, exec, s[6:7]
	s_waitcnt vmcnt(0)
	v_add_f32_e32 v39, v6, v4
	v_mul_f32_e32 v49, 0xbf27a4f4, v39
	v_add_f32_e32 v40, v8, v12
	v_sub_f32_e32 v19, v7, v5
	v_mov_b32_e32 v2, v49
	v_mul_f32_e32 v50, 0xbe11bafb, v40
	v_fmac_f32_e32 v2, 0xbf4178ce, v19
	v_sub_f32_e32 v30, v9, v13
	v_mov_b32_e32 v3, v50
	v_sub_f32_e32 v43, v6, v4
	v_add_f32_e32 v2, v0, v2
	v_fmac_f32_e32 v3, 0x3f7d64f0, v30
	s_mov_b32 s8, 0xbf27a4f4
	v_add_f32_e32 v32, v7, v5
	v_mul_f32_e32 v52, 0xbf4178ce, v43
	v_sub_f32_e32 v44, v8, v12
	v_add_f32_e32 v2, v2, v3
	v_fma_f32 v3, v32, s8, -v52
	s_mov_b32 s9, 0xbe11bafb
	v_add_f32_e32 v33, v9, v13
	v_mul_f32_e32 v54, 0x3f7d64f0, v44
	v_add_f32_e32 v41, v10, v28
	v_add_f32_e32 v3, v1, v3
	v_fma_f32 v31, v33, s9, -v54
	v_mul_f32_e32 v51, 0x3f575c64, v41
	v_add_f32_e32 v3, v3, v31
	v_sub_f32_e32 v31, v11, v29
	v_mov_b32_e32 v34, v51
	v_sub_f32_e32 v46, v10, v28
	v_fmac_f32_e32 v34, 0xbf0a6770, v31
	s_mov_b32 s14, 0x3f575c64
	v_add_f32_e32 v35, v11, v29
	v_mul_f32_e32 v55, 0xbf0a6770, v46
	v_add_f32_e32 v42, v14, v26
	v_add_f32_e32 v2, v2, v34
	v_fma_f32 v34, v35, s14, -v55
	v_mul_f32_e32 v53, 0xbf75a155, v42
	v_add_f32_e32 v3, v3, v34
	v_sub_f32_e32 v34, v15, v27
	v_mov_b32_e32 v36, v53
	v_sub_f32_e32 v48, v14, v26
	v_fmac_f32_e32 v36, 0xbe903f40, v34
	s_mov_b32 s15, 0xbf75a155
	v_add_f32_e32 v37, v15, v27
	v_mul_f32_e32 v57, 0xbe903f40, v48
	v_add_f32_e32 v45, v24, v22
	v_add_f32_e32 v2, v2, v36
	v_fma_f32 v36, v37, s15, -v57
	v_mul_f32_e32 v56, 0x3ed4b147, v45
	v_sub_f32_e32 v47, v24, v22
	v_add_f32_e32 v3, v3, v36
	s_mov_b32 s16, 0x3ed4b147
	v_sub_f32_e32 v36, v25, v23
	v_mov_b32_e32 v59, v56
	v_add_f32_e32 v38, v25, v23
	v_mul_f32_e32 v58, 0x3f68dda4, v47
	v_fmac_f32_e32 v59, 0x3f68dda4, v36
	v_fma_f32 v60, v38, s16, -v58
	v_add_f32_e32 v2, v59, v2
	v_add_f32_e32 v3, v60, v3
	s_and_saveexec_b64 s[6:7], s[2:3]
	s_cbranch_execz .LBB0_13
; %bb.12:
	v_mul_f32_e32 v61, 0xbe903f40, v43
	v_fma_f32 v59, v32, s15, -v61
	v_mul_f32_e32 v62, 0x3f0a6770, v44
	v_add_f32_e32 v59, v1, v59
	v_fma_f32 v60, v33, s14, -v62
	v_mul_f32_e32 v63, 0xbf4178ce, v46
	v_add_f32_e32 v59, v59, v60
	;; [unrolled: 3-line block ×4, first 2 shown]
	v_mov_b32_e32 v60, v65
	v_mul_f32_e32 v66, 0x3f0a6770, v30
	v_fmac_f32_e32 v60, 0xbf75a155, v39
	v_mov_b32_e32 v67, v66
	v_add_f32_e32 v6, v0, v6
	v_add_f32_e32 v60, v0, v60
	v_fmac_f32_e32 v67, 0x3f575c64, v40
	v_add_f32_e32 v7, v1, v7
	v_add_f32_e32 v6, v6, v8
	;; [unrolled: 1-line block ×3, first 2 shown]
	v_mul_f32_e32 v67, 0xbf4178ce, v31
	v_add_f32_e32 v7, v7, v9
	v_add_f32_e32 v6, v6, v10
	v_mov_b32_e32 v68, v67
	v_fmac_f32_e32 v61, 0xbf75a155, v32
	v_add_f32_e32 v7, v7, v11
	v_add_f32_e32 v6, v6, v14
	v_fmac_f32_e32 v68, 0xbf27a4f4, v41
	v_add_f32_e32 v61, v1, v61
	v_fmac_f32_e32 v62, 0x3f575c64, v33
	v_add_f32_e32 v7, v7, v15
	v_add_f32_e32 v6, v6, v24
	;; [unrolled: 1-line block ×3, first 2 shown]
	v_mul_f32_e32 v68, 0x3f68dda4, v34
	v_add_f32_e32 v61, v61, v62
	v_fmac_f32_e32 v63, 0xbf27a4f4, v35
	v_fma_f32 v62, v39, s15, -v65
	v_add_f32_e32 v7, v7, v25
	v_add_f32_e32 v6, v6, v22
	v_mov_b32_e32 v69, v68
	v_add_f32_e32 v61, v61, v63
	v_add_f32_e32 v62, v0, v62
	v_fma_f32 v63, v40, s14, -v66
	v_add_f32_e32 v7, v7, v23
	v_add_f32_e32 v6, v6, v26
	v_fmac_f32_e32 v69, 0x3ed4b147, v42
	v_mul_f32_e32 v70, 0xbf7d64f0, v47
	v_fmac_f32_e32 v64, 0x3ed4b147, v37
	v_add_f32_e32 v62, v62, v63
	v_fma_f32 v63, v41, s8, -v67
	v_add_f32_e32 v7, v7, v27
	v_add_f32_e32 v6, v28, v6
	v_mul_f32_e32 v14, 0xbf68dda4, v43
	v_add_f32_e32 v69, v60, v69
	v_fma_f32 v60, v38, s9, -v70
	v_mul_f32_e32 v71, 0xbf7d64f0, v36
	v_add_f32_e32 v61, v61, v64
	v_add_f32_e32 v62, v62, v63
	v_fma_f32 v63, v42, s16, -v68
	v_fmac_f32_e32 v70, 0xbe11bafb, v38
	v_add_f32_e32 v7, v29, v7
	v_add_f32_e32 v6, v12, v6
	v_mov_b32_e32 v8, v14
	v_mul_f32_e32 v12, 0xbf4178ce, v44
	v_add_f32_e32 v63, v62, v63
	v_add_f32_e32 v62, v70, v61
	v_fma_f32 v61, v45, s9, -v71
	v_add_f32_e32 v7, v13, v7
	v_fmac_f32_e32 v8, 0x3ed4b147, v32
	v_add_f32_e32 v4, v4, v6
	v_mov_b32_e32 v6, v12
	v_mul_f32_e32 v13, 0x3e903f40, v46
	v_add_f32_e32 v61, v61, v63
	v_mul_f32_e32 v63, 0xbf27a4f4, v32
	v_add_f32_e32 v8, v1, v8
	v_add_f32_e32 v5, v5, v7
	v_fmac_f32_e32 v6, 0xbf27a4f4, v33
	v_mov_b32_e32 v7, v13
	v_add_f32_e32 v52, v63, v52
	v_mul_f32_e32 v63, 0xbe11bafb, v33
	v_add_f32_e32 v6, v8, v6
	v_fmac_f32_e32 v7, 0xbf75a155, v35
	v_mul_f32_e32 v15, 0x3f7d64f0, v48
	v_add_f32_e32 v54, v63, v54
	v_add_f32_e32 v52, v1, v52
	v_add_f32_e32 v6, v6, v7
	v_mov_b32_e32 v7, v15
	v_add_f32_e32 v52, v52, v54
	v_mul_f32_e32 v54, 0x3f575c64, v35
	v_fmac_f32_e32 v7, 0xbe11bafb, v37
	v_mul_f32_e32 v22, 0x3ed4b147, v39
	v_add_f32_e32 v54, v54, v55
	v_mul_f32_e32 v55, 0xbf4178ce, v19
	v_add_f32_e32 v6, v6, v7
	v_mov_b32_e32 v7, v22
	v_mul_f32_e32 v23, 0xbf27a4f4, v40
	v_sub_f32_e32 v49, v49, v55
	v_mul_f32_e32 v55, 0x3f7d64f0, v30
	v_fmac_f32_e32 v7, 0x3f68dda4, v19
	v_mov_b32_e32 v8, v23
	v_sub_f32_e32 v50, v50, v55
	v_add_f32_e32 v49, v0, v49
	v_add_f32_e32 v7, v0, v7
	v_fmac_f32_e32 v8, 0x3f4178ce, v30
	v_mul_f32_e32 v24, 0xbf75a155, v41
	v_add_f32_e32 v49, v49, v50
	v_mul_f32_e32 v50, 0xbf0a6770, v31
	v_add_f32_e32 v7, v7, v8
	v_mov_b32_e32 v8, v24
	v_sub_f32_e32 v50, v51, v50
	v_fmac_f32_e32 v8, 0xbe903f40, v31
	v_mul_f32_e32 v25, 0xbe11bafb, v42
	v_add_f32_e32 v52, v52, v54
	v_mul_f32_e32 v54, 0xbf75a155, v37
	v_add_f32_e32 v49, v49, v50
	;; [unrolled: 2-line block ×3, first 2 shown]
	v_mov_b32_e32 v8, v25
	v_add_f32_e32 v54, v54, v57
	v_sub_f32_e32 v50, v53, v50
	v_fmac_f32_e32 v8, 0xbf7d64f0, v34
	v_mul_f32_e32 v26, 0x3f0a6770, v47
	v_add_f32_e32 v52, v52, v54
	v_mul_f32_e32 v54, 0x3ed4b147, v38
	v_add_f32_e32 v49, v49, v50
	;; [unrolled: 2-line block ×3, first 2 shown]
	v_mov_b32_e32 v7, v26
	v_add_f32_e32 v54, v54, v58
	v_sub_f32_e32 v51, v56, v50
	v_mul_f32_e32 v53, 0xbf7d64f0, v43
	v_fmac_f32_e32 v7, 0x3f575c64, v38
	v_mul_f32_e32 v27, 0x3f575c64, v45
	v_add_f32_e32 v50, v54, v52
	v_add_f32_e32 v49, v51, v49
	v_mov_b32_e32 v51, v53
	v_mul_f32_e32 v54, 0x3e903f40, v44
	v_add_f32_e32 v7, v7, v6
	v_mov_b32_e32 v6, v27
	v_fmac_f32_e32 v51, 0xbe11bafb, v32
	v_mov_b32_e32 v52, v54
	v_fmac_f32_e32 v6, 0xbf0a6770, v36
	v_mul_f32_e32 v28, 0xbf0a6770, v43
	v_add_f32_e32 v51, v1, v51
	v_fmac_f32_e32 v52, 0xbf75a155, v33
	v_mul_f32_e32 v55, 0x3f68dda4, v46
	v_add_f32_e32 v6, v6, v8
	v_mov_b32_e32 v8, v28
	v_mul_f32_e32 v29, 0xbf68dda4, v44
	v_add_f32_e32 v51, v51, v52
	v_mov_b32_e32 v52, v55
	v_fmac_f32_e32 v8, 0x3f575c64, v32
	v_mov_b32_e32 v9, v29
	v_fmac_f32_e32 v52, 0x3ed4b147, v35
	v_mul_f32_e32 v56, 0xbf0a6770, v48
	v_add_f32_e32 v8, v1, v8
	v_fmac_f32_e32 v9, 0x3ed4b147, v33
	v_mul_f32_e32 v43, 0xbf7d64f0, v46
	v_add_f32_e32 v51, v51, v52
	v_mov_b32_e32 v52, v56
	v_add_f32_e32 v8, v8, v9
	v_mov_b32_e32 v9, v43
	v_fmac_f32_e32 v52, 0x3f575c64, v37
	v_mul_f32_e32 v57, 0xbe11bafb, v39
	v_fmac_f32_e32 v9, 0xbe11bafb, v35
	v_mul_f32_e32 v44, 0xbf4178ce, v48
	v_add_f32_e32 v51, v51, v52
	v_mov_b32_e32 v52, v57
	v_mul_f32_e32 v58, 0xbf75a155, v40
	v_add_f32_e32 v8, v8, v9
	v_mov_b32_e32 v9, v44
	v_fmac_f32_e32 v52, 0x3f7d64f0, v19
	v_mov_b32_e32 v63, v58
	v_fmac_f32_e32 v9, 0xbf27a4f4, v37
	v_mul_f32_e32 v39, 0x3f575c64, v39
	v_add_f32_e32 v52, v0, v52
	v_fmac_f32_e32 v63, 0xbe903f40, v30
	v_add_f32_e32 v8, v8, v9
	v_mov_b32_e32 v9, v39
	v_mul_f32_e32 v40, 0x3ed4b147, v40
	v_add_f32_e32 v52, v52, v63
	v_mul_f32_e32 v63, 0x3ed4b147, v41
	v_fmac_f32_e32 v9, 0x3f0a6770, v19
	v_mov_b32_e32 v10, v40
	v_mov_b32_e32 v64, v63
	v_add_f32_e32 v9, v0, v9
	v_fmac_f32_e32 v10, 0x3f68dda4, v30
	v_mul_f32_e32 v41, 0xbe11bafb, v41
	v_fmac_f32_e32 v64, 0xbf68dda4, v31
	v_add_f32_e32 v9, v9, v10
	v_mov_b32_e32 v10, v41
	v_add_f32_e32 v52, v52, v64
	v_mul_f32_e32 v64, 0x3f575c64, v42
	v_fmac_f32_e32 v10, 0x3f7d64f0, v31
	v_mul_f32_e32 v42, 0xbf27a4f4, v42
	v_add_f32_e32 v9, v9, v10
	v_mov_b32_e32 v10, v42
	v_fmac_f32_e32 v10, 0x3f4178ce, v34
	v_mul_f32_e32 v46, 0xbe903f40, v47
	v_add_f32_e32 v60, v60, v59
	v_mov_b32_e32 v59, v71
	v_add_f32_e32 v10, v9, v10
	v_mov_b32_e32 v9, v46
	v_fmac_f32_e32 v59, 0xbe11bafb, v45
	v_mul_f32_e32 v67, 0xbf27a4f4, v45
	v_fmac_f32_e32 v9, 0xbf75a155, v38
	v_mul_f32_e32 v45, 0xbf75a155, v45
	v_add_f32_e32 v9, v9, v8
	v_mov_b32_e32 v8, v45
	v_fmac_f32_e32 v8, 0x3e903f40, v36
	v_fma_f32 v14, v32, s16, -v14
	v_add_f32_e32 v8, v8, v10
	v_fma_f32 v10, v32, s9, -v53
	v_add_f32_e32 v14, v1, v14
	;; [unrolled: 2-line block ×4, first 2 shown]
	v_fma_f32 v13, v35, s15, -v13
	v_mov_b32_e32 v65, v64
	v_add_f32_e32 v10, v10, v11
	v_fma_f32 v11, v35, s16, -v55
	v_add_f32_e32 v12, v12, v13
	v_fma_f32 v13, v37, s9, -v15
	v_fma_f32 v14, v32, s14, -v28
	v_fmac_f32_e32 v65, 0x3f0a6770, v34
	v_mul_f32_e32 v66, 0xbf4178ce, v47
	v_add_f32_e32 v10, v10, v11
	v_fma_f32 v11, v37, s14, -v56
	v_fmac_f32_e32 v57, 0xbf7d64f0, v19
	v_add_f32_e32 v12, v12, v13
	v_fma_f32 v13, v38, s14, -v26
	v_fmac_f32_e32 v22, 0xbf68dda4, v19
	;; [unrolled: 3-line block ×3, first 2 shown]
	v_add_f32_e32 v65, v52, v65
	v_mov_b32_e32 v52, v66
	v_add_f32_e32 v10, v10, v11
	v_add_f32_e32 v11, v0, v57
	v_fmac_f32_e32 v58, 0x3e903f40, v30
	v_add_f32_e32 v13, v13, v12
	v_add_f32_e32 v12, v0, v22
	v_fmac_f32_e32 v23, 0xbf4178ce, v30
	v_add_f32_e32 v1, v1, v14
	v_fma_f32 v14, v35, s9, -v43
	v_add_f32_e32 v0, v0, v39
	v_fmac_f32_e32 v40, 0xbf68dda4, v30
	v_fmac_f32_e32 v52, 0xbf27a4f4, v38
	v_add_f32_e32 v11, v11, v58
	v_fmac_f32_e32 v63, 0x3f68dda4, v31
	v_add_f32_e32 v12, v12, v23
	;; [unrolled: 2-line block ×3, first 2 shown]
	v_fma_f32 v14, v37, s8, -v44
	v_add_f32_e32 v0, v0, v40
	v_fmac_f32_e32 v41, 0xbf7d64f0, v31
	v_add_f32_e32 v52, v52, v51
	v_mov_b32_e32 v51, v67
	v_add_f32_e32 v11, v11, v63
	v_fmac_f32_e32 v64, 0xbf0a6770, v34
	v_add_f32_e32 v12, v12, v24
	v_fmac_f32_e32 v25, 0x3f7d64f0, v34
	v_add_f32_e32 v1, v1, v14
	v_fma_f32 v14, v38, s15, -v46
	v_add_f32_e32 v0, v0, v41
	v_fmac_f32_e32 v42, 0xbf4178ce, v34
	s_movk_i32 s2, 0x58
	v_fmac_f32_e32 v51, 0x3f4178ce, v36
	v_add_f32_e32 v47, v11, v64
	v_fma_f32 v11, v38, s8, -v66
	v_fmac_f32_e32 v67, 0xbf4178ce, v36
	v_add_f32_e32 v12, v12, v25
	v_fmac_f32_e32 v27, 0x3f0a6770, v36
	v_add_f32_e32 v1, v14, v1
	v_add_f32_e32 v0, v0, v42
	v_fmac_f32_e32 v45, 0xbe903f40, v36
	v_mad_u32_u24 v14, v18, s2, 0
	v_add_f32_e32 v59, v59, v69
	v_add_f32_e32 v51, v51, v65
	;; [unrolled: 1-line block ×6, first 2 shown]
	ds_write2_b64 v14, v[4:5], v[8:9] offset1:1
	ds_write2_b64 v14, v[6:7], v[51:52] offset0:2 offset1:3
	ds_write2_b64 v14, v[49:50], v[61:62] offset0:4 offset1:5
	;; [unrolled: 1-line block ×4, first 2 shown]
	ds_write_b64 v14, v[0:1] offset:80
.LBB0_13:
	s_or_b64 exec, exec, s[6:7]
	s_load_dwordx2 s[2:3], s[4:5], 0x0
	s_movk_i32 s4, 0x75
	v_mul_lo_u16_sdwa v0, v18, s4 dst_sel:DWORD dst_unused:UNUSED_PAD src0_sel:BYTE_0 src1_sel:DWORD
	v_sub_u16_sdwa v1, v18, v0 dst_sel:DWORD dst_unused:UNUSED_PAD src0_sel:DWORD src1_sel:BYTE_1
	v_lshrrev_b16_e32 v1, 1, v1
	v_and_b32_e32 v1, 0x7f, v1
	v_add_u16_sdwa v0, v1, v0 dst_sel:DWORD dst_unused:UNUSED_PAD src0_sel:DWORD src1_sel:BYTE_1
	v_lshrrev_b16_e32 v35, 3, v0
	v_mul_lo_u16_e32 v0, 11, v35
	v_sub_u16_e32 v36, v18, v0
	v_mov_b32_e32 v0, 6
	v_mul_u32_u24_sdwa v0, v36, v0 dst_sel:DWORD dst_unused:UNUSED_PAD src0_sel:BYTE_0 src1_sel:DWORD
	v_lshlrev_b32_e32 v0, 3, v0
	s_waitcnt lgkmcnt(0)
	s_barrier
	global_load_dwordx4 v[4:7], v0, s[12:13]
	global_load_dwordx4 v[8:11], v0, s[12:13] offset:16
	global_load_dwordx4 v[12:15], v0, s[12:13] offset:32
	v_lshl_add_u32 v19, v18, 3, 0
	v_add_u32_e32 v0, 0x400, v19
	ds_read2_b64 v[23:26], v19 offset1:88
	v_add_u32_e32 v22, 0x800, v19
	ds_read2_b64 v[27:30], v0 offset0:48 offset1:136
	ds_read_b64 v[0:1], v19 offset:4224
	ds_read2_b64 v[31:34], v22 offset0:96 offset1:184
	s_mov_b32 s5, 0x3f3bfb3b
	s_mov_b32 s4, 0x3f5ff5aa
	s_waitcnt vmcnt(0) lgkmcnt(0)
	s_barrier
	v_mul_f32_e32 v37, v5, v26
	v_mul_f32_e32 v5, v5, v25
	;; [unrolled: 1-line block ×12, first 2 shown]
	v_fma_f32 v25, v4, v25, -v37
	v_fmac_f32_e32 v5, v4, v26
	v_fma_f32 v4, v6, v27, -v38
	v_fmac_f32_e32 v7, v6, v28
	;; [unrolled: 2-line block ×4, first 2 shown]
	v_fma_f32 v10, v12, v33, -v41
	v_fma_f32 v0, v14, v0, -v42
	v_fmac_f32_e32 v13, v12, v34
	v_fmac_f32_e32 v15, v14, v1
	v_add_f32_e32 v1, v25, v0
	v_add_f32_e32 v14, v4, v10
	;; [unrolled: 1-line block ×3, first 2 shown]
	v_sub_f32_e32 v5, v5, v15
	v_add_f32_e32 v15, v7, v13
	v_sub_f32_e32 v4, v4, v10
	v_sub_f32_e32 v7, v7, v13
	v_add_f32_e32 v10, v6, v8
	v_add_f32_e32 v13, v9, v11
	v_sub_f32_e32 v6, v8, v6
	v_sub_f32_e32 v8, v11, v9
	v_add_f32_e32 v9, v14, v1
	v_sub_f32_e32 v0, v25, v0
	v_add_f32_e32 v11, v15, v12
	v_add_f32_e32 v9, v10, v9
	v_sub_f32_e32 v25, v14, v1
	v_sub_f32_e32 v26, v15, v12
	;; [unrolled: 1-line block ×5, first 2 shown]
	v_add_f32_e32 v27, v6, v4
	v_add_f32_e32 v28, v8, v7
	v_sub_f32_e32 v29, v6, v4
	v_sub_f32_e32 v31, v4, v0
	v_add_f32_e32 v10, v13, v11
	v_add_f32_e32 v4, v9, v23
	v_sub_f32_e32 v12, v12, v13
	v_sub_f32_e32 v30, v8, v7
	;; [unrolled: 1-line block ×5, first 2 shown]
	v_add_f32_e32 v0, v27, v0
	v_add_f32_e32 v11, v28, v5
	v_mul_f32_e32 v13, 0x3d64c772, v14
	v_mul_f32_e32 v27, 0x3d64c772, v15
	v_add_f32_e32 v5, v10, v24
	v_mov_b32_e32 v23, v4
	v_mul_f32_e32 v1, 0x3f4a47b2, v1
	v_mul_f32_e32 v12, 0x3f4a47b2, v12
	;; [unrolled: 1-line block ×4, first 2 shown]
	v_fma_f32 v13, v25, s5, -v13
	v_mov_b32_e32 v24, v5
	v_fmac_f32_e32 v23, 0xbf955555, v9
	v_fma_f32 v9, v26, s5, -v27
	s_mov_b32 s5, 0xbf3bfb3b
	v_mul_f32_e32 v30, 0x3f5ff5aa, v31
	v_fmac_f32_e32 v24, 0xbf955555, v10
	v_fma_f32 v10, v25, s5, -v1
	v_fmac_f32_e32 v1, 0x3d64c772, v14
	v_fma_f32 v14, v26, s5, -v12
	;; [unrolled: 2-line block ×3, first 2 shown]
	v_fma_f32 v25, v7, s4, -v29
	s_mov_b32 s4, 0xbeae86e6
	v_mul_f32_e32 v32, 0x3f5ff5aa, v7
	v_fma_f32 v26, v6, s4, -v30
	v_fmac_f32_e32 v29, 0x3eae86e6, v8
	v_fma_f32 v27, v8, s4, -v32
	v_add_f32_e32 v30, v12, v24
	v_add_f32_e32 v12, v13, v23
	;; [unrolled: 1-line block ×4, first 2 shown]
	v_fmac_f32_e32 v15, 0x3ee1c552, v0
	v_fmac_f32_e32 v26, 0x3ee1c552, v0
	;; [unrolled: 1-line block ×3, first 2 shown]
	v_add_f32_e32 v1, v1, v23
	v_add_f32_e32 v23, v10, v23
	v_fmac_f32_e32 v29, 0x3ee1c552, v11
	v_fmac_f32_e32 v25, 0x3ee1c552, v11
	;; [unrolled: 1-line block ×3, first 2 shown]
	v_sub_f32_e32 v9, v24, v26
	v_add_f32_e32 v11, v15, v13
	v_sub_f32_e32 v13, v13, v15
	v_add_f32_e32 v15, v26, v24
	v_mov_b32_e32 v24, 3
	v_fmac_f32_e32 v28, 0x3ee1c552, v0
	v_add_f32_e32 v8, v27, v23
	v_sub_f32_e32 v14, v23, v27
	v_mul_u32_u24_e32 v23, 0x268, v35
	v_lshlrev_b32_sdwa v24, v24, v36 dst_sel:DWORD dst_unused:UNUSED_PAD src0_sel:DWORD src1_sel:BYTE_0
	s_movk_i32 s4, 0x4d
	v_add_f32_e32 v6, v29, v1
	v_sub_f32_e32 v7, v30, v28
	v_sub_f32_e32 v10, v12, v25
	v_add_f32_e32 v12, v25, v12
	v_sub_f32_e32 v0, v1, v29
	v_add_f32_e32 v1, v28, v30
	v_add3_u32 v23, 0, v23, v24
	v_cmp_gt_u32_e32 vcc, s4, v18
	ds_write2_b64 v23, v[4:5], v[6:7] offset1:11
	ds_write2_b64 v23, v[8:9], v[10:11] offset0:22 offset1:33
	ds_write2_b64 v23, v[12:13], v[14:15] offset0:44 offset1:55
	ds_write_b64 v23, v[0:1] offset:528
	s_waitcnt lgkmcnt(0)
	s_barrier
	s_and_saveexec_b64 s[4:5], vcc
	s_cbranch_execnz .LBB0_16
; %bb.14:
	s_or_b64 exec, exec, s[4:5]
	s_and_b64 s[0:1], s[0:1], vcc
	s_and_saveexec_b64 s[4:5], s[0:1]
	s_cbranch_execnz .LBB0_17
.LBB0_15:
	s_endpgm
.LBB0_16:
	ds_read2_b64 v[4:7], v19 offset1:77
	ds_read2_b64 v[8:11], v19 offset0:154 offset1:231
	ds_read2_b64 v[12:15], v22 offset0:52 offset1:129
	v_add_u32_e32 v0, 0xc00, v19
	ds_read2_b64 v[0:3], v0 offset0:78 offset1:155
	s_or_b64 exec, exec, s[4:5]
	s_and_b64 s[0:1], s[0:1], vcc
	s_and_saveexec_b64 s[4:5], s[0:1]
	s_cbranch_execz .LBB0_15
.LBB0_17:
	v_mul_u32_u24_e32 v19, 7, v18
	v_lshlrev_b32_e32 v19, 3, v19
	global_load_dwordx4 v[22:25], v19, s[12:13] offset:528
	global_load_dwordx4 v[26:29], v19, s[12:13] offset:560
	;; [unrolled: 1-line block ×3, first 2 shown]
	global_load_dwordx2 v[34:35], v19, s[12:13] offset:576
	v_mul_lo_u32 v19, s3, v20
	v_mul_lo_u32 v36, s2, v21
	v_mad_u64_u32 v[20:21], s[0:1], s2, v20, 0
	v_lshlrev_b64 v[16:17], 3, v[16:17]
	v_add3_u32 v21, v21, v36, v19
	v_lshlrev_b64 v[20:21], 3, v[20:21]
	v_add_co_u32_e32 v20, vcc, s10, v20
	s_waitcnt vmcnt(3) lgkmcnt(2)
	v_mul_f32_e32 v19, v9, v25
	s_waitcnt vmcnt(2) lgkmcnt(0)
	v_mul_f32_e32 v36, v1, v29
	s_waitcnt vmcnt(1)
	v_mul_f32_e32 v37, v13, v32
	v_mul_f32_e32 v38, v7, v23
	;; [unrolled: 1-line block ×4, first 2 shown]
	s_waitcnt vmcnt(0)
	v_mul_f32_e32 v41, v3, v34
	v_mul_f32_e32 v3, v3, v35
	;; [unrolled: 1-line block ×8, first 2 shown]
	v_fma_f32 v8, v8, v24, -v19
	v_fma_f32 v0, v0, v28, -v36
	v_fmac_f32_e32 v37, v12, v33
	v_fma_f32 v6, v6, v22, -v38
	v_fma_f32 v14, v14, v26, -v39
	v_fmac_f32_e32 v40, v10, v31
	v_fmac_f32_e32 v41, v2, v35
	v_fma_f32 v2, v2, v34, -v3
	v_fmac_f32_e32 v23, v7, v22
	v_fmac_f32_e32 v27, v15, v26
	;; [unrolled: 3-line block ×3, first 2 shown]
	v_fma_f32 v10, v10, v30, -v11
	v_sub_f32_e32 v0, v8, v0
	v_sub_f32_e32 v7, v5, v37
	;; [unrolled: 1-line block ×8, first 2 shown]
	v_add_f32_e32 v13, v0, v7
	v_sub_f32_e32 v19, v3, v12
	v_fma_f32 v22, v5, 2.0, -v7
	v_fma_f32 v5, v25, 2.0, -v12
	;; [unrolled: 1-line block ×7, first 2 shown]
	v_sub_f32_e32 v14, v9, v1
	v_add_f32_e32 v15, v11, v2
	v_fma_f32 v2, v10, 2.0, -v2
	v_mov_b32_e32 v1, v13
	v_mov_b32_e32 v0, v19
	v_sub_f32_e32 v10, v22, v5
	v_sub_f32_e32 v25, v24, v4
	;; [unrolled: 1-line block ×4, first 2 shown]
	v_fmac_f32_e32 v1, 0x3f3504f3, v15
	v_fmac_f32_e32 v0, 0x3f3504f3, v14
	v_sub_f32_e32 v2, v25, v8
	v_fma_f32 v22, v22, 2.0, -v10
	v_fma_f32 v8, v6, 2.0, -v8
	;; [unrolled: 1-line block ×4, first 2 shown]
	v_add_f32_e32 v3, v10, v23
	v_fmac_f32_e32 v1, 0x3f3504f3, v14
	v_fmac_f32_e32 v0, 0xbf3504f3, v15
	v_sub_f32_e32 v9, v22, v8
	v_fma_f32 v26, v7, 2.0, -v13
	v_fma_f32 v28, v11, 2.0, -v15
	;; [unrolled: 1-line block ×8, first 2 shown]
	v_mov_b32_e32 v22, s11
	v_sub_f32_e32 v8, v19, v8
	v_addc_co_u32_e32 v21, vcc, v22, v21, vcc
	v_fma_f32 v12, v19, 2.0, -v8
	v_mov_b32_e32 v19, 0
	v_add_co_u32_e32 v20, vcc, v20, v16
	v_addc_co_u32_e32 v21, vcc, v21, v17, vcc
	v_lshlrev_b64 v[16:17], 3, v[18:19]
	v_mov_b32_e32 v5, v26
	v_mov_b32_e32 v4, v29
	v_fmac_f32_e32 v5, 0xbf3504f3, v28
	v_fmac_f32_e32 v4, 0xbf3504f3, v27
	v_add_co_u32_e32 v16, vcc, v20, v16
	v_fmac_f32_e32 v5, 0x3f3504f3, v27
	v_fmac_f32_e32 v4, 0xbf3504f3, v28
	v_addc_co_u32_e32 v17, vcc, v21, v17, vcc
	v_fma_f32 v6, v25, 2.0, -v2
	v_fma_f32 v15, v26, 2.0, -v5
	;; [unrolled: 1-line block ×3, first 2 shown]
	global_store_dwordx2 v[16:17], v[12:13], off
	global_store_dwordx2 v[16:17], v[14:15], off offset:616
	global_store_dwordx2 v[16:17], v[6:7], off offset:1232
	;; [unrolled: 1-line block ×6, first 2 shown]
	v_add_co_u32_e32 v2, vcc, 0x1000, v16
	v_addc_co_u32_e32 v3, vcc, 0, v17, vcc
	global_store_dwordx2 v[2:3], v[0:1], off offset:216
	s_endpgm
	.section	.rodata,"a",@progbits
	.p2align	6, 0x0
	.amdhsa_kernel fft_rtc_fwd_len616_factors_11_7_8_wgs_88_tpt_88_sp_op_CI_CI_unitstride_sbrr_dirReg
		.amdhsa_group_segment_fixed_size 0
		.amdhsa_private_segment_fixed_size 0
		.amdhsa_kernarg_size 104
		.amdhsa_user_sgpr_count 6
		.amdhsa_user_sgpr_private_segment_buffer 1
		.amdhsa_user_sgpr_dispatch_ptr 0
		.amdhsa_user_sgpr_queue_ptr 0
		.amdhsa_user_sgpr_kernarg_segment_ptr 1
		.amdhsa_user_sgpr_dispatch_id 0
		.amdhsa_user_sgpr_flat_scratch_init 0
		.amdhsa_user_sgpr_private_segment_size 0
		.amdhsa_uses_dynamic_stack 0
		.amdhsa_system_sgpr_private_segment_wavefront_offset 0
		.amdhsa_system_sgpr_workgroup_id_x 1
		.amdhsa_system_sgpr_workgroup_id_y 0
		.amdhsa_system_sgpr_workgroup_id_z 0
		.amdhsa_system_sgpr_workgroup_info 0
		.amdhsa_system_vgpr_workitem_id 0
		.amdhsa_next_free_vgpr 72
		.amdhsa_next_free_sgpr 28
		.amdhsa_reserve_vcc 1
		.amdhsa_reserve_flat_scratch 0
		.amdhsa_float_round_mode_32 0
		.amdhsa_float_round_mode_16_64 0
		.amdhsa_float_denorm_mode_32 3
		.amdhsa_float_denorm_mode_16_64 3
		.amdhsa_dx10_clamp 1
		.amdhsa_ieee_mode 1
		.amdhsa_fp16_overflow 0
		.amdhsa_exception_fp_ieee_invalid_op 0
		.amdhsa_exception_fp_denorm_src 0
		.amdhsa_exception_fp_ieee_div_zero 0
		.amdhsa_exception_fp_ieee_overflow 0
		.amdhsa_exception_fp_ieee_underflow 0
		.amdhsa_exception_fp_ieee_inexact 0
		.amdhsa_exception_int_div_zero 0
	.end_amdhsa_kernel
	.text
.Lfunc_end0:
	.size	fft_rtc_fwd_len616_factors_11_7_8_wgs_88_tpt_88_sp_op_CI_CI_unitstride_sbrr_dirReg, .Lfunc_end0-fft_rtc_fwd_len616_factors_11_7_8_wgs_88_tpt_88_sp_op_CI_CI_unitstride_sbrr_dirReg
                                        ; -- End function
	.section	.AMDGPU.csdata,"",@progbits
; Kernel info:
; codeLenInByte = 5100
; NumSgprs: 32
; NumVgprs: 72
; ScratchSize: 0
; MemoryBound: 0
; FloatMode: 240
; IeeeMode: 1
; LDSByteSize: 0 bytes/workgroup (compile time only)
; SGPRBlocks: 3
; VGPRBlocks: 17
; NumSGPRsForWavesPerEU: 32
; NumVGPRsForWavesPerEU: 72
; Occupancy: 3
; WaveLimiterHint : 1
; COMPUTE_PGM_RSRC2:SCRATCH_EN: 0
; COMPUTE_PGM_RSRC2:USER_SGPR: 6
; COMPUTE_PGM_RSRC2:TRAP_HANDLER: 0
; COMPUTE_PGM_RSRC2:TGID_X_EN: 1
; COMPUTE_PGM_RSRC2:TGID_Y_EN: 0
; COMPUTE_PGM_RSRC2:TGID_Z_EN: 0
; COMPUTE_PGM_RSRC2:TIDIG_COMP_CNT: 0
	.type	__hip_cuid_b2f1a413f8526b05,@object ; @__hip_cuid_b2f1a413f8526b05
	.section	.bss,"aw",@nobits
	.globl	__hip_cuid_b2f1a413f8526b05
__hip_cuid_b2f1a413f8526b05:
	.byte	0                               ; 0x0
	.size	__hip_cuid_b2f1a413f8526b05, 1

	.ident	"AMD clang version 19.0.0git (https://github.com/RadeonOpenCompute/llvm-project roc-6.4.0 25133 c7fe45cf4b819c5991fe208aaa96edf142730f1d)"
	.section	".note.GNU-stack","",@progbits
	.addrsig
	.addrsig_sym __hip_cuid_b2f1a413f8526b05
	.amdgpu_metadata
---
amdhsa.kernels:
  - .args:
      - .actual_access:  read_only
        .address_space:  global
        .offset:         0
        .size:           8
        .value_kind:     global_buffer
      - .offset:         8
        .size:           8
        .value_kind:     by_value
      - .actual_access:  read_only
        .address_space:  global
        .offset:         16
        .size:           8
        .value_kind:     global_buffer
      - .actual_access:  read_only
        .address_space:  global
        .offset:         24
        .size:           8
        .value_kind:     global_buffer
      - .actual_access:  read_only
        .address_space:  global
        .offset:         32
        .size:           8
        .value_kind:     global_buffer
      - .offset:         40
        .size:           8
        .value_kind:     by_value
      - .actual_access:  read_only
        .address_space:  global
        .offset:         48
        .size:           8
        .value_kind:     global_buffer
      - .actual_access:  read_only
        .address_space:  global
        .offset:         56
        .size:           8
        .value_kind:     global_buffer
      - .offset:         64
        .size:           4
        .value_kind:     by_value
      - .actual_access:  read_only
        .address_space:  global
        .offset:         72
        .size:           8
        .value_kind:     global_buffer
      - .actual_access:  read_only
        .address_space:  global
        .offset:         80
        .size:           8
        .value_kind:     global_buffer
      - .actual_access:  read_only
        .address_space:  global
        .offset:         88
        .size:           8
        .value_kind:     global_buffer
      - .actual_access:  write_only
        .address_space:  global
        .offset:         96
        .size:           8
        .value_kind:     global_buffer
    .group_segment_fixed_size: 0
    .kernarg_segment_align: 8
    .kernarg_segment_size: 104
    .language:       OpenCL C
    .language_version:
      - 2
      - 0
    .max_flat_workgroup_size: 88
    .name:           fft_rtc_fwd_len616_factors_11_7_8_wgs_88_tpt_88_sp_op_CI_CI_unitstride_sbrr_dirReg
    .private_segment_fixed_size: 0
    .sgpr_count:     32
    .sgpr_spill_count: 0
    .symbol:         fft_rtc_fwd_len616_factors_11_7_8_wgs_88_tpt_88_sp_op_CI_CI_unitstride_sbrr_dirReg.kd
    .uniform_work_group_size: 1
    .uses_dynamic_stack: false
    .vgpr_count:     72
    .vgpr_spill_count: 0
    .wavefront_size: 64
amdhsa.target:   amdgcn-amd-amdhsa--gfx906
amdhsa.version:
  - 1
  - 2
...

	.end_amdgpu_metadata
